;; amdgpu-corpus repo=ROCm/rocFFT kind=compiled arch=gfx1030 opt=O3
	.text
	.amdgcn_target "amdgcn-amd-amdhsa--gfx1030"
	.amdhsa_code_object_version 6
	.protected	fft_rtc_fwd_len1470_factors_2_3_5_7_7_wgs_210_tpt_210_halfLds_half_ip_CI_sbrr_dirReg ; -- Begin function fft_rtc_fwd_len1470_factors_2_3_5_7_7_wgs_210_tpt_210_halfLds_half_ip_CI_sbrr_dirReg
	.globl	fft_rtc_fwd_len1470_factors_2_3_5_7_7_wgs_210_tpt_210_halfLds_half_ip_CI_sbrr_dirReg
	.p2align	8
	.type	fft_rtc_fwd_len1470_factors_2_3_5_7_7_wgs_210_tpt_210_halfLds_half_ip_CI_sbrr_dirReg,@function
fft_rtc_fwd_len1470_factors_2_3_5_7_7_wgs_210_tpt_210_halfLds_half_ip_CI_sbrr_dirReg: ; @fft_rtc_fwd_len1470_factors_2_3_5_7_7_wgs_210_tpt_210_halfLds_half_ip_CI_sbrr_dirReg
; %bb.0:
	s_clause 0x2
	s_load_dwordx2 s[14:15], s[4:5], 0x18
	s_load_dwordx4 s[8:11], s[4:5], 0x0
	s_load_dwordx2 s[2:3], s[4:5], 0x50
	v_mul_u32_u24_e32 v1, 0x139, v0
	v_mov_b32_e32 v3, 0
	v_add_nc_u32_sdwa v5, s6, v1 dst_sel:DWORD dst_unused:UNUSED_PAD src0_sel:DWORD src1_sel:WORD_1
	v_mov_b32_e32 v1, 0
	v_mov_b32_e32 v6, v3
	v_mov_b32_e32 v2, 0
	s_waitcnt lgkmcnt(0)
	s_load_dwordx2 s[12:13], s[14:15], 0x0
	v_cmp_lt_u64_e64 s0, s[10:11], 2
	s_and_b32 vcc_lo, exec_lo, s0
	s_cbranch_vccnz .LBB0_8
; %bb.1:
	s_load_dwordx2 s[0:1], s[4:5], 0x10
	v_mov_b32_e32 v1, 0
	s_add_u32 s6, s14, 8
	v_mov_b32_e32 v2, 0
	s_addc_u32 s7, s15, 0
	s_mov_b64 s[18:19], 1
	s_waitcnt lgkmcnt(0)
	s_add_u32 s16, s0, 8
	s_addc_u32 s17, s1, 0
.LBB0_2:                                ; =>This Inner Loop Header: Depth=1
	s_load_dwordx2 s[20:21], s[16:17], 0x0
                                        ; implicit-def: $vgpr7_vgpr8
	s_mov_b32 s0, exec_lo
	s_waitcnt lgkmcnt(0)
	v_or_b32_e32 v4, s21, v6
	v_cmpx_ne_u64_e32 0, v[3:4]
	s_xor_b32 s1, exec_lo, s0
	s_cbranch_execz .LBB0_4
; %bb.3:                                ;   in Loop: Header=BB0_2 Depth=1
	v_cvt_f32_u32_e32 v4, s20
	v_cvt_f32_u32_e32 v7, s21
	s_sub_u32 s0, 0, s20
	s_subb_u32 s22, 0, s21
	v_fmac_f32_e32 v4, 0x4f800000, v7
	v_rcp_f32_e32 v4, v4
	v_mul_f32_e32 v4, 0x5f7ffffc, v4
	v_mul_f32_e32 v7, 0x2f800000, v4
	v_trunc_f32_e32 v7, v7
	v_fmac_f32_e32 v4, 0xcf800000, v7
	v_cvt_u32_f32_e32 v7, v7
	v_cvt_u32_f32_e32 v4, v4
	v_mul_lo_u32 v8, s0, v7
	v_mul_hi_u32 v9, s0, v4
	v_mul_lo_u32 v10, s22, v4
	v_add_nc_u32_e32 v8, v9, v8
	v_mul_lo_u32 v9, s0, v4
	v_add_nc_u32_e32 v8, v8, v10
	v_mul_hi_u32 v10, v4, v9
	v_mul_lo_u32 v11, v4, v8
	v_mul_hi_u32 v12, v4, v8
	v_mul_hi_u32 v13, v7, v9
	v_mul_lo_u32 v9, v7, v9
	v_mul_hi_u32 v14, v7, v8
	v_mul_lo_u32 v8, v7, v8
	v_add_co_u32 v10, vcc_lo, v10, v11
	v_add_co_ci_u32_e32 v11, vcc_lo, 0, v12, vcc_lo
	v_add_co_u32 v9, vcc_lo, v10, v9
	v_add_co_ci_u32_e32 v9, vcc_lo, v11, v13, vcc_lo
	v_add_co_ci_u32_e32 v10, vcc_lo, 0, v14, vcc_lo
	v_add_co_u32 v8, vcc_lo, v9, v8
	v_add_co_ci_u32_e32 v9, vcc_lo, 0, v10, vcc_lo
	v_add_co_u32 v4, vcc_lo, v4, v8
	v_add_co_ci_u32_e32 v7, vcc_lo, v7, v9, vcc_lo
	v_mul_hi_u32 v8, s0, v4
	v_mul_lo_u32 v10, s22, v4
	v_mul_lo_u32 v9, s0, v7
	v_add_nc_u32_e32 v8, v8, v9
	v_mul_lo_u32 v9, s0, v4
	v_add_nc_u32_e32 v8, v8, v10
	v_mul_hi_u32 v10, v4, v9
	v_mul_lo_u32 v11, v4, v8
	v_mul_hi_u32 v12, v4, v8
	v_mul_hi_u32 v13, v7, v9
	v_mul_lo_u32 v9, v7, v9
	v_mul_hi_u32 v14, v7, v8
	v_mul_lo_u32 v8, v7, v8
	v_add_co_u32 v10, vcc_lo, v10, v11
	v_add_co_ci_u32_e32 v11, vcc_lo, 0, v12, vcc_lo
	v_add_co_u32 v9, vcc_lo, v10, v9
	v_add_co_ci_u32_e32 v9, vcc_lo, v11, v13, vcc_lo
	v_add_co_ci_u32_e32 v10, vcc_lo, 0, v14, vcc_lo
	v_add_co_u32 v8, vcc_lo, v9, v8
	v_add_co_ci_u32_e32 v9, vcc_lo, 0, v10, vcc_lo
	v_add_co_u32 v4, vcc_lo, v4, v8
	v_add_co_ci_u32_e32 v11, vcc_lo, v7, v9, vcc_lo
	v_mul_hi_u32 v13, v5, v4
	v_mad_u64_u32 v[9:10], null, v6, v4, 0
	v_mad_u64_u32 v[7:8], null, v5, v11, 0
	;; [unrolled: 1-line block ×3, first 2 shown]
	v_add_co_u32 v4, vcc_lo, v13, v7
	v_add_co_ci_u32_e32 v7, vcc_lo, 0, v8, vcc_lo
	v_add_co_u32 v4, vcc_lo, v4, v9
	v_add_co_ci_u32_e32 v4, vcc_lo, v7, v10, vcc_lo
	v_add_co_ci_u32_e32 v7, vcc_lo, 0, v12, vcc_lo
	v_add_co_u32 v4, vcc_lo, v4, v11
	v_add_co_ci_u32_e32 v9, vcc_lo, 0, v7, vcc_lo
	v_mul_lo_u32 v10, s21, v4
	v_mad_u64_u32 v[7:8], null, s20, v4, 0
	v_mul_lo_u32 v11, s20, v9
	v_sub_co_u32 v7, vcc_lo, v5, v7
	v_add3_u32 v8, v8, v11, v10
	v_sub_nc_u32_e32 v10, v6, v8
	v_subrev_co_ci_u32_e64 v10, s0, s21, v10, vcc_lo
	v_add_co_u32 v11, s0, v4, 2
	v_add_co_ci_u32_e64 v12, s0, 0, v9, s0
	v_sub_co_u32 v13, s0, v7, s20
	v_sub_co_ci_u32_e32 v8, vcc_lo, v6, v8, vcc_lo
	v_subrev_co_ci_u32_e64 v10, s0, 0, v10, s0
	v_cmp_le_u32_e32 vcc_lo, s20, v13
	v_cmp_eq_u32_e64 s0, s21, v8
	v_cndmask_b32_e64 v13, 0, -1, vcc_lo
	v_cmp_le_u32_e32 vcc_lo, s21, v10
	v_cndmask_b32_e64 v14, 0, -1, vcc_lo
	v_cmp_le_u32_e32 vcc_lo, s20, v7
	;; [unrolled: 2-line block ×3, first 2 shown]
	v_cndmask_b32_e64 v15, 0, -1, vcc_lo
	v_cmp_eq_u32_e32 vcc_lo, s21, v10
	v_cndmask_b32_e64 v7, v15, v7, s0
	v_cndmask_b32_e32 v10, v14, v13, vcc_lo
	v_add_co_u32 v13, vcc_lo, v4, 1
	v_add_co_ci_u32_e32 v14, vcc_lo, 0, v9, vcc_lo
	v_cmp_ne_u32_e32 vcc_lo, 0, v10
	v_cndmask_b32_e32 v8, v14, v12, vcc_lo
	v_cndmask_b32_e32 v10, v13, v11, vcc_lo
	v_cmp_ne_u32_e32 vcc_lo, 0, v7
	v_cndmask_b32_e32 v8, v9, v8, vcc_lo
	v_cndmask_b32_e32 v7, v4, v10, vcc_lo
.LBB0_4:                                ;   in Loop: Header=BB0_2 Depth=1
	s_andn2_saveexec_b32 s0, s1
	s_cbranch_execz .LBB0_6
; %bb.5:                                ;   in Loop: Header=BB0_2 Depth=1
	v_cvt_f32_u32_e32 v4, s20
	s_sub_i32 s1, 0, s20
	v_rcp_iflag_f32_e32 v4, v4
	v_mul_f32_e32 v4, 0x4f7ffffe, v4
	v_cvt_u32_f32_e32 v4, v4
	v_mul_lo_u32 v7, s1, v4
	v_mul_hi_u32 v7, v4, v7
	v_add_nc_u32_e32 v4, v4, v7
	v_mul_hi_u32 v4, v5, v4
	v_mul_lo_u32 v7, v4, s20
	v_add_nc_u32_e32 v8, 1, v4
	v_sub_nc_u32_e32 v7, v5, v7
	v_subrev_nc_u32_e32 v9, s20, v7
	v_cmp_le_u32_e32 vcc_lo, s20, v7
	v_cndmask_b32_e32 v7, v7, v9, vcc_lo
	v_cndmask_b32_e32 v4, v4, v8, vcc_lo
	v_cmp_le_u32_e32 vcc_lo, s20, v7
	v_add_nc_u32_e32 v8, 1, v4
	v_cndmask_b32_e32 v7, v4, v8, vcc_lo
	v_mov_b32_e32 v8, v3
.LBB0_6:                                ;   in Loop: Header=BB0_2 Depth=1
	s_or_b32 exec_lo, exec_lo, s0
	s_load_dwordx2 s[0:1], s[6:7], 0x0
	v_mul_lo_u32 v4, v8, s20
	v_mul_lo_u32 v11, v7, s21
	v_mad_u64_u32 v[9:10], null, v7, s20, 0
	s_add_u32 s18, s18, 1
	s_addc_u32 s19, s19, 0
	s_add_u32 s6, s6, 8
	s_addc_u32 s7, s7, 0
	;; [unrolled: 2-line block ×3, first 2 shown]
	v_add3_u32 v4, v10, v11, v4
	v_sub_co_u32 v5, vcc_lo, v5, v9
	v_sub_co_ci_u32_e32 v4, vcc_lo, v6, v4, vcc_lo
	s_waitcnt lgkmcnt(0)
	v_mul_lo_u32 v6, s1, v5
	v_mul_lo_u32 v4, s0, v4
	v_mad_u64_u32 v[1:2], null, s0, v5, v[1:2]
	v_cmp_ge_u64_e64 s0, s[18:19], s[10:11]
	s_and_b32 vcc_lo, exec_lo, s0
	v_add3_u32 v2, v6, v2, v4
	s_cbranch_vccnz .LBB0_9
; %bb.7:                                ;   in Loop: Header=BB0_2 Depth=1
	v_mov_b32_e32 v5, v7
	v_mov_b32_e32 v6, v8
	s_branch .LBB0_2
.LBB0_8:
	v_mov_b32_e32 v8, v6
	v_mov_b32_e32 v7, v5
.LBB0_9:
	s_lshl_b64 s[0:1], s[10:11], 3
	v_mul_hi_u32 v3, 0x1381382, v0
	s_add_u32 s0, s14, s0
	s_addc_u32 s1, s15, s1
	s_load_dwordx2 s[0:1], s[0:1], 0x0
	s_load_dwordx2 s[4:5], s[4:5], 0x20
	v_mul_u32_u24_e32 v3, 0xd2, v3
	v_sub_nc_u32_e32 v3, v0, v3
	v_add_nc_u32_e32 v9, 0xd2, v3
	s_waitcnt lgkmcnt(0)
	v_mul_lo_u32 v4, s0, v8
	v_mul_lo_u32 v5, s1, v7
	v_mad_u64_u32 v[1:2], null, s0, v7, v[1:2]
	v_cmp_gt_u64_e32 vcc_lo, s[4:5], v[7:8]
	v_cmp_le_u64_e64 s0, s[4:5], v[7:8]
                                        ; implicit-def: $sgpr4
                                        ; implicit-def: $sgpr5
	v_add3_u32 v2, v5, v2, v4
	v_add_nc_u32_e32 v5, 0x1a4, v3
	s_and_saveexec_b32 s1, s0
	s_xor_b32 s0, exec_lo, s1
; %bb.10:
	v_add_nc_u32_e32 v9, 0xd2, v3
	v_add_nc_u32_e32 v5, 0x1a4, v3
	s_mov_b32 s5, 0
	s_mov_b32 s4, 0
; %bb.11:
	s_or_saveexec_b32 s1, s0
	v_lshlrev_b64 v[0:1], 2, v[1:2]
	v_mov_b32_e32 v6, s5
	v_mov_b32_e32 v4, s4
	v_mov_b32_e32 v16, s5
                                        ; implicit-def: $vgpr11
                                        ; implicit-def: $vgpr2
                                        ; implicit-def: $vgpr17
                                        ; implicit-def: $vgpr13
                                        ; implicit-def: $vgpr12
                                        ; implicit-def: $vgpr8
                                        ; implicit-def: $vgpr21
                                        ; implicit-def: $vgpr14
                                        ; implicit-def: $vgpr22
                                        ; implicit-def: $vgpr10
                                        ; implicit-def: $vgpr23
                                        ; implicit-def: $vgpr15
                                        ; implicit-def: $vgpr7
                                        ; implicit-def: $vgpr18
	s_xor_b32 exec_lo, exec_lo, s1
	s_cbranch_execz .LBB0_15
; %bb.12:
	v_mad_u64_u32 v[6:7], null, s12, v3, 0
	v_add_nc_u32_e32 v4, 0x2df, v3
	v_mad_u64_u32 v[14:15], null, s12, v9, 0
	v_add_nc_u32_e32 v21, 0x3b1, v3
	s_mov_b32 s4, exec_lo
	v_mad_u64_u32 v[12:13], null, s12, v4, 0
	v_mov_b32_e32 v2, v7
	v_mad_u64_u32 v[16:17], null, s12, v21, 0
	v_mad_u64_u32 v[7:8], null, s13, v3, v[2:3]
	v_mov_b32_e32 v2, v13
	v_mov_b32_e32 v8, v15
	v_mad_u64_u32 v[10:11], null, s13, v4, v[2:3]
	v_mad_u64_u32 v[18:19], null, s13, v9, v[8:9]
	v_mov_b32_e32 v2, v17
	v_add_nc_u32_e32 v8, 0x483, v3
	v_mad_u64_u32 v[19:20], null, s12, v5, 0
	v_mov_b32_e32 v13, v10
	v_mad_u64_u32 v[21:22], null, s13, v21, v[2:3]
	v_mad_u64_u32 v[22:23], null, s12, v8, 0
	v_lshlrev_b64 v[6:7], 2, v[6:7]
	v_mov_b32_e32 v2, v20
	v_add_co_u32 v4, s0, s2, v0
	v_mov_b32_e32 v15, v18
	v_mov_b32_e32 v17, v21
	v_mad_u64_u32 v[20:21], null, s13, v5, v[2:3]
	v_mov_b32_e32 v2, v23
	v_add_co_ci_u32_e64 v11, s0, s3, v1, s0
	v_lshlrev_b64 v[12:13], 2, v[12:13]
	v_add_co_u32 v6, s0, v4, v6
	v_lshlrev_b64 v[14:15], 2, v[14:15]
	v_mad_u64_u32 v[23:24], null, s13, v8, v[2:3]
	v_add_co_ci_u32_e64 v7, s0, v11, v7, s0
	v_add_co_u32 v12, s0, v4, v12
	v_lshlrev_b64 v[16:17], 2, v[16:17]
	v_add_co_ci_u32_e64 v13, s0, v11, v13, s0
	v_add_co_u32 v14, s0, v4, v14
	v_lshlrev_b64 v[18:19], 2, v[19:20]
	;; [unrolled: 3-line block ×3, first 2 shown]
	v_add_co_ci_u32_e64 v17, s0, v11, v17, s0
	v_add_co_u32 v18, s0, v4, v18
	v_add_co_ci_u32_e64 v19, s0, v11, v19, s0
	v_add_co_u32 v20, s0, v4, v20
	v_add_co_ci_u32_e64 v21, s0, v11, v21, s0
	s_clause 0x5
	global_load_dword v2, v[6:7], off
	global_load_dword v13, v[12:13], off
	;; [unrolled: 1-line block ×6, first 2 shown]
	v_mov_b32_e32 v16, 0
	v_mov_b32_e32 v6, 0
                                        ; implicit-def: $vgpr18
                                        ; implicit-def: $vgpr7
	v_cmpx_gt_u32_e32 0x69, v3
	s_cbranch_execz .LBB0_14
; %bb.13:
	v_add_nc_u32_e32 v19, 0x555, v3
	v_add_nc_u32_e32 v18, 0x276, v3
	v_mad_u64_u32 v[16:17], null, s12, v19, 0
	v_mad_u64_u32 v[6:7], null, s12, v18, 0
	v_mov_b32_e32 v12, v17
	s_waitcnt vmcnt(3)
	v_mad_u64_u32 v[17:18], null, s13, v18, v[7:8]
	v_mad_u64_u32 v[18:19], null, s13, v19, v[12:13]
	v_mov_b32_e32 v7, v17
	v_mov_b32_e32 v17, v18
	v_lshlrev_b64 v[6:7], 2, v[6:7]
	v_lshlrev_b64 v[16:17], 2, v[16:17]
	v_add_co_u32 v6, s0, v4, v6
	v_add_co_ci_u32_e64 v7, s0, v11, v7, s0
	v_add_co_u32 v18, s0, v4, v16
	v_add_co_ci_u32_e64 v19, s0, v11, v17, s0
	s_clause 0x1
	global_load_dword v16, v[6:7], off
	global_load_dword v18, v[18:19], off
	s_waitcnt vmcnt(1)
	v_lshrrev_b32_e32 v6, 16, v16
	s_waitcnt vmcnt(0)
	v_lshrrev_b32_e32 v7, 16, v18
.LBB0_14:
	s_or_b32 exec_lo, exec_lo, s4
	s_waitcnt vmcnt(5)
	v_lshrrev_b32_e32 v11, 16, v2
	s_waitcnt vmcnt(4)
	v_lshrrev_b32_e32 v17, 16, v13
	;; [unrolled: 2-line block ×6, first 2 shown]
	v_mov_b32_e32 v4, v3
.LBB0_15:
	s_or_b32 exec_lo, exec_lo, s1
	v_sub_f16_e32 v14, v8, v14
	v_sub_f16_e32 v19, v2, v13
	v_sub_f16_e32 v15, v10, v15
	v_sub_f16_e32 v13, v16, v18
	v_lshlrev_b32_e32 v20, 1, v3
	v_fma_f16 v8, v8, 2.0, -v14
	v_fma_f16 v2, v2, 2.0, -v19
	;; [unrolled: 1-line block ×3, first 2 shown]
	v_lshl_add_u32 v24, v3, 2, 0
	v_fma_f16 v10, v16, 2.0, -v13
	v_pack_b32_f16 v8, v8, v14
	v_add_nc_u32_e32 v14, 0x276, v3
	v_pack_b32_f16 v16, v2, v19
	v_lshlrev_b32_e32 v29, 1, v9
	v_lshl_add_u32 v25, v9, 2, 0
	v_lshlrev_b32_e32 v2, 1, v5
	v_lshl_add_u32 v27, v5, 2, 0
	v_cmp_gt_u32_e64 s0, 0x69, v3
	v_lshl_add_u32 v26, v14, 2, 0
	v_pack_b32_f16 v15, v18, v15
	ds_write_b32 v24, v16
	ds_write_b32 v25, v8
	;; [unrolled: 1-line block ×3, first 2 shown]
	s_and_saveexec_b32 s1, s0
	s_cbranch_execz .LBB0_17
; %bb.16:
	v_perm_b32 v8, v13, v10, 0x5040100
	ds_write_b32 v26, v8
.LBB0_17:
	s_or_b32 exec_lo, exec_lo, s1
	v_sub_nc_u32_e32 v18, v24, v20
	v_sub_nc_u32_e32 v8, v25, v29
	s_waitcnt lgkmcnt(0)
	s_barrier
	buffer_gl0_inv
	ds_read_u16 v14, v18
	ds_read_u16 v16, v18 offset:980
	ds_read_u16 v8, v8
	ds_read_u16 v15, v18 offset:2380
	ds_read_u16 v19, v18 offset:1960
	;; [unrolled: 1-line block ×3, first 2 shown]
	v_sub_nc_u32_e32 v20, 0, v20
	v_cmp_gt_u32_e64 s1, 0x46, v3
	v_sub_nc_u32_e32 v28, v27, v2
	v_add_nc_u32_e32 v2, v24, v20
                                        ; implicit-def: $vgpr20
	s_and_saveexec_b32 s4, s1
	s_cbranch_execz .LBB0_19
; %bb.18:
	ds_read_u16 v10, v28
	ds_read_u16 v13, v2 offset:1820
	ds_read_u16 v20, v2 offset:2800
.LBB0_19:
	s_or_b32 exec_lo, exec_lo, s4
	v_sub_f16_e32 v30, v11, v17
	v_sub_f16_e32 v31, v12, v21
	;; [unrolled: 1-line block ×4, first 2 shown]
	v_sub_nc_u32_e32 v17, 0, v29
	v_fma_f16 v7, v11, 2.0, -v30
	v_fma_f16 v11, v12, 2.0, -v31
	;; [unrolled: 1-line block ×3, first 2 shown]
	s_waitcnt lgkmcnt(0)
	s_barrier
	v_pack_b32_f16 v7, v7, v30
	v_pack_b32_f16 v22, v11, v31
	v_fma_f16 v11, v6, 2.0, -v21
	v_pack_b32_f16 v12, v12, v23
	buffer_gl0_inv
	ds_write_b32 v24, v7
	ds_write_b32 v25, v22
	;; [unrolled: 1-line block ×3, first 2 shown]
	s_and_saveexec_b32 s4, s0
	s_cbranch_execz .LBB0_21
; %bb.20:
	v_perm_b32 v6, v21, v11, 0x5040100
	ds_write_b32 v26, v6
.LBB0_21:
	s_or_b32 exec_lo, exec_lo, s4
	v_add_nc_u32_e32 v6, v25, v17
	s_waitcnt lgkmcnt(0)
	s_barrier
	buffer_gl0_inv
	ds_read_u16 v24, v2 offset:980
	ds_read_u16 v22, v2 offset:2380
	;; [unrolled: 1-line block ×4, first 2 shown]
	ds_read_u16 v12, v2
	ds_read_u16 v7, v6
                                        ; implicit-def: $vgpr31
	s_and_saveexec_b32 s0, s1
	s_cbranch_execz .LBB0_23
; %bb.22:
	ds_read_u16 v11, v28
	ds_read_u16 v21, v2 offset:1820
	ds_read_u16 v31, v2 offset:2800
.LBB0_23:
	s_or_b32 exec_lo, exec_lo, s0
	v_and_b32_e32 v17, 1, v3
	v_lshrrev_b32_e32 v27, 1, v3
	v_lshlrev_b32_e32 v23, 3, v17
	v_mul_u32_u24_e32 v27, 6, v27
	global_load_dwordx2 v[38:39], v23, s[8:9]
	v_lshrrev_b32_e32 v23, 1, v9
	v_or_b32_e32 v27, v27, v17
	s_waitcnt vmcnt(0) lgkmcnt(0)
	s_barrier
	buffer_gl0_inv
	v_mul_lo_u32 v28, v23, 6
	v_lshrrev_b32_e32 v23, 1, v5
	v_or_b32_e32 v29, v28, v17
	v_lshl_add_u32 v28, v27, 1, 0
	v_lshl_add_u32 v27, v29, 1, 0
	v_mul_f16_sdwa v36, v24, v38 dst_sel:DWORD dst_unused:UNUSED_PAD src0_sel:DWORD src1_sel:WORD_1
	v_mul_f16_sdwa v37, v26, v39 dst_sel:DWORD dst_unused:UNUSED_PAD src0_sel:DWORD src1_sel:WORD_1
	;; [unrolled: 1-line block ×12, first 2 shown]
	v_fma_f16 v36, v16, v38, -v36
	v_fma_f16 v37, v19, v39, -v37
	;; [unrolled: 1-line block ×6, first 2 shown]
	v_fmac_f16_e32 v35, v24, v38
	v_fmac_f16_e32 v32, v26, v39
	;; [unrolled: 1-line block ×6, first 2 shown]
	v_add_f16_e32 v16, v36, v37
	v_add_f16_e32 v24, v18, v19
	;; [unrolled: 1-line block ×4, first 2 shown]
	v_sub_f16_e32 v21, v35, v32
	v_add_f16_e32 v22, v8, v18
	v_sub_f16_e32 v25, v34, v29
	v_add_f16_e32 v26, v10, v13
	v_sub_f16_e32 v38, v33, v30
	v_fmac_f16_e32 v14, -0.5, v16
	v_fmac_f16_e32 v8, -0.5, v24
	;; [unrolled: 1-line block ×3, first 2 shown]
	v_add_f16_e32 v39, v15, v37
	v_add_f16_e32 v15, v26, v20
	v_fmamk_f16 v24, v21, 0x3aee, v14
	v_fmac_f16_e32 v14, 0xbaee, v21
	v_fmamk_f16 v21, v25, 0x3aee, v8
	v_fmac_f16_e32 v8, 0xbaee, v25
	;; [unrolled: 2-line block ×3, first 2 shown]
	v_add_f16_e32 v22, v22, v19
	ds_write_b16 v28, v39
	ds_write_b16 v28, v24 offset:4
	ds_write_b16 v28, v14 offset:8
	ds_write_b16 v27, v22
	ds_write_b16 v27, v21 offset:4
	ds_write_b16 v27, v8 offset:8
	s_and_saveexec_b32 s0, s1
	s_cbranch_execz .LBB0_25
; %bb.24:
	v_mul_lo_u32 v14, v23, 6
	v_or_b32_e32 v14, v14, v17
	v_lshl_add_u32 v14, v14, 1, 0
	ds_write_b16 v14, v15
	ds_write_b16 v14, v16 offset:4
	ds_write_b16 v14, v10 offset:8
.LBB0_25:
	s_or_b32 exec_lo, exec_lo, s0
	s_waitcnt lgkmcnt(0)
	s_barrier
	buffer_gl0_inv
	ds_read_u16 v14, v2
	ds_read_u16 v26, v2 offset:588
	ds_read_u16 v24, v2 offset:1176
	;; [unrolled: 1-line block ×4, first 2 shown]
	v_cmp_gt_u32_e64 s0, 0x54, v3
                                        ; implicit-def: $vgpr25
	s_and_saveexec_b32 s4, s0
	s_cbranch_execz .LBB0_27
; %bb.26:
	ds_read_u16 v8, v6
	ds_read_u16 v15, v2 offset:1008
	ds_read_u16 v16, v2 offset:1596
	;; [unrolled: 1-line block ×4, first 2 shown]
.LBB0_27:
	s_or_b32 exec_lo, exec_lo, s4
	v_add_f16_e32 v31, v35, v32
	v_add_f16_e32 v35, v12, v35
	v_sub_f16_e32 v36, v36, v37
	v_add_f16_e32 v37, v34, v29
	v_sub_f16_e32 v18, v18, v19
	v_fmac_f16_e32 v12, -0.5, v31
	v_add_f16_e32 v31, v7, v34
	v_add_f16_e32 v34, v33, v30
	v_fmac_f16_e32 v7, -0.5, v37
	v_add_f16_e32 v19, v11, v33
	v_sub_f16_e32 v13, v13, v20
	v_add_f16_e32 v32, v35, v32
	v_fmac_f16_e32 v11, -0.5, v34
	v_add_f16_e32 v20, v31, v29
	v_fmamk_f16 v29, v18, 0xbaee, v7
	v_fmac_f16_e32 v7, 0x3aee, v18
	v_add_f16_e32 v31, v19, v30
	v_fmamk_f16 v30, v13, 0xbaee, v11
	v_fmac_f16_e32 v11, 0x3aee, v13
	v_fmamk_f16 v35, v36, 0xbaee, v12
	v_fmac_f16_e32 v12, 0x3aee, v36
	s_waitcnt lgkmcnt(0)
	s_barrier
	buffer_gl0_inv
	ds_write_b16 v28, v32
	ds_write_b16 v28, v35 offset:4
	ds_write_b16 v28, v12 offset:8
	ds_write_b16 v27, v20
	ds_write_b16 v27, v29 offset:4
	ds_write_b16 v27, v7 offset:8
	s_and_saveexec_b32 s4, s1
	s_cbranch_execz .LBB0_29
; %bb.28:
	v_mul_lo_u32 v12, v23, 6
	v_or_b32_e32 v12, v12, v17
	v_lshl_add_u32 v12, v12, 1, 0
	ds_write_b16 v12, v31
	ds_write_b16 v12, v30 offset:4
	ds_write_b16 v12, v11 offset:8
.LBB0_29:
	s_or_b32 exec_lo, exec_lo, s4
	s_waitcnt lgkmcnt(0)
	s_barrier
	buffer_gl0_inv
	ds_read_u16 v13, v2
	ds_read_u16 v38, v2 offset:588
	ds_read_u16 v37, v2 offset:1176
	;; [unrolled: 1-line block ×4, first 2 shown]
                                        ; implicit-def: $vgpr34
	s_and_saveexec_b32 s1, s0
	s_cbranch_execz .LBB0_31
; %bb.30:
	ds_read_u16 v7, v6
	ds_read_u16 v31, v2 offset:1008
	ds_read_u16 v30, v2 offset:1596
	ds_read_u16 v11, v2 offset:2184
	ds_read_u16 v34, v2 offset:2772
.LBB0_31:
	s_or_b32 exec_lo, exec_lo, s1
	v_and_b32_e32 v12, 0xff, v3
	v_mov_b32_e32 v18, 0xaaab
	v_mov_b32_e32 v20, 4
	;; [unrolled: 1-line block ×3, first 2 shown]
	v_mul_lo_u16 v17, 0xab, v12
	v_mul_u32_u24_sdwa v18, v9, v18 dst_sel:DWORD dst_unused:UNUSED_PAD src0_sel:WORD_0 src1_sel:DWORD
	v_lshrrev_b16 v17, 10, v17
	v_lshrrev_b32_e32 v18, 18, v18
	v_mul_lo_u16 v19, v17, 6
	v_mul_lo_u16 v23, v18, 6
	v_sub_nc_u16 v19, v3, v19
	v_sub_nc_u16 v9, v9, v23
	v_lshlrev_b32_sdwa v27, v20, v19 dst_sel:DWORD dst_unused:UNUSED_PAD src0_sel:DWORD src1_sel:BYTE_0
	v_lshlrev_b32_sdwa v20, v20, v9 dst_sel:DWORD dst_unused:UNUSED_PAD src0_sel:DWORD src1_sel:WORD_0
	v_lshlrev_b32_sdwa v19, v39, v19 dst_sel:DWORD dst_unused:UNUSED_PAD src0_sel:DWORD src1_sel:BYTE_0
	s_clause 0x1
	global_load_dwordx4 v[41:44], v27, s[8:9] offset:16
	global_load_dwordx4 v[45:48], v20, s[8:9] offset:16
	v_mov_b32_e32 v20, 60
	s_waitcnt vmcnt(0) lgkmcnt(0)
	s_barrier
	buffer_gl0_inv
	v_mul_u32_u24_sdwa v20, v17, v20 dst_sel:DWORD dst_unused:UNUSED_PAD src0_sel:WORD_0 src1_sel:DWORD
	v_mul_lo_u16 v17, v18, 30
	v_add3_u32 v27, 0, v20, v19
	v_mul_f16_sdwa v33, v26, v41 dst_sel:DWORD dst_unused:UNUSED_PAD src0_sel:DWORD src1_sel:WORD_1
	v_mul_f16_sdwa v49, v37, v42 dst_sel:DWORD dst_unused:UNUSED_PAD src0_sel:DWORD src1_sel:WORD_1
	;; [unrolled: 1-line block ×8, first 2 shown]
	v_fmac_f16_e32 v33, v38, v41
	v_fma_f16 v38, v24, v42, -v49
	v_fma_f16 v22, v22, v43, -v50
	v_mul_f16_sdwa v35, v24, v42 dst_sel:DWORD dst_unused:UNUSED_PAD src0_sel:DWORD src1_sel:WORD_1
	v_mul_f16_sdwa v18, v15, v45 dst_sel:DWORD dst_unused:UNUSED_PAD src0_sel:DWORD src1_sel:WORD_1
	v_fma_f16 v40, v26, v41, -v40
	v_fma_f16 v21, v21, v44, -v51
	v_mul_f16_sdwa v54, v11, v47 dst_sel:DWORD dst_unused:UNUSED_PAD src0_sel:DWORD src1_sel:WORD_1
	v_mul_f16_sdwa v52, v31, v45 dst_sel:DWORD dst_unused:UNUSED_PAD src0_sel:DWORD src1_sel:WORD_1
	;; [unrolled: 1-line block ×4, first 2 shown]
	v_fmac_f16_e32 v29, v28, v44
	v_fmac_f16_e32 v20, v11, v47
	v_add_f16_e32 v11, v38, v22
	v_mul_f16_sdwa v53, v30, v46 dst_sel:DWORD dst_unused:UNUSED_PAD src0_sel:DWORD src1_sel:WORD_1
	v_fmac_f16_e32 v35, v37, v42
	v_fmac_f16_e32 v32, v36, v43
	;; [unrolled: 1-line block ×3, first 2 shown]
	v_add_f16_e32 v31, v40, v21
	v_fma_f16 v26, v10, v47, -v54
	v_add_f16_e32 v10, v14, v40
	v_mul_f16_sdwa v55, v34, v48 dst_sel:DWORD dst_unused:UNUSED_PAD src0_sel:DWORD src1_sel:WORD_1
	v_fma_f16 v28, v15, v45, -v52
	v_fmac_f16_e32 v19, v30, v46
	v_fmac_f16_e32 v23, v34, v48
	v_sub_f16_e32 v15, v33, v29
	v_sub_f16_e32 v30, v40, v38
	;; [unrolled: 1-line block ×3, first 2 shown]
	v_fma_f16 v11, -0.5, v11, v14
	v_fma_f16 v24, v16, v46, -v53
	v_sub_f16_e32 v16, v35, v32
	v_sub_f16_e32 v36, v38, v40
	;; [unrolled: 1-line block ×3, first 2 shown]
	v_fmac_f16_e32 v14, -0.5, v31
	v_add_f16_e32 v10, v10, v38
	v_add_f16_e32 v30, v30, v34
	v_fmamk_f16 v34, v15, 0x3b9c, v11
	v_add_f16_e32 v31, v36, v37
	v_fmamk_f16 v36, v16, 0xbb9c, v14
	v_fmac_f16_e32 v14, 0x3b9c, v16
	v_fmac_f16_e32 v11, 0xbb9c, v15
	v_add_f16_e32 v10, v10, v22
	v_fmac_f16_e32 v34, 0x38b4, v16
	v_fmac_f16_e32 v36, 0x38b4, v15
	;; [unrolled: 1-line block ×4, first 2 shown]
	v_fma_f16 v25, v25, v48, -v55
	v_add_f16_e32 v10, v10, v21
	v_fmac_f16_e32 v34, 0x34f2, v30
	v_fmac_f16_e32 v36, 0x34f2, v31
	;; [unrolled: 1-line block ×4, first 2 shown]
	ds_write_b16 v27, v10
	ds_write_b16 v27, v34 offset:12
	ds_write_b16 v27, v36 offset:24
	;; [unrolled: 1-line block ×4, first 2 shown]
	s_and_saveexec_b32 s1, s0
	s_cbranch_execz .LBB0_33
; %bb.32:
	v_add_f16_e32 v10, v28, v25
	v_add_f16_e32 v30, v24, v26
	v_sub_f16_e32 v11, v24, v28
	v_sub_f16_e32 v14, v26, v25
	v_add_f16_e32 v34, v8, v28
	v_sub_f16_e32 v16, v18, v23
	v_fma_f16 v10, -0.5, v10, v8
	v_fma_f16 v8, -0.5, v30, v8
	v_sub_f16_e32 v15, v19, v20
	v_sub_f16_e32 v31, v28, v24
	;; [unrolled: 1-line block ×3, first 2 shown]
	v_add_f16_e32 v11, v11, v14
	v_add_f16_e32 v14, v34, v24
	v_fmamk_f16 v30, v16, 0xbb9c, v8
	v_fmac_f16_e32 v8, 0x3b9c, v16
	v_fmamk_f16 v37, v15, 0x3b9c, v10
	v_fmac_f16_e32 v10, 0xbb9c, v15
	v_add_f16_e32 v31, v31, v36
	v_add_f16_e32 v14, v14, v26
	v_lshlrev_b32_sdwa v34, v39, v9 dst_sel:DWORD dst_unused:UNUSED_PAD src0_sel:DWORD src1_sel:WORD_0
	v_lshlrev_b32_sdwa v36, v39, v17 dst_sel:DWORD dst_unused:UNUSED_PAD src0_sel:DWORD src1_sel:WORD_0
	v_fmac_f16_e32 v8, 0x38b4, v15
	v_fmac_f16_e32 v10, 0x38b4, v16
	;; [unrolled: 1-line block ×4, first 2 shown]
	v_add_f16_e32 v14, v14, v25
	v_add3_u32 v15, 0, v34, v36
	v_fmac_f16_e32 v8, 0x34f2, v31
	v_fmac_f16_e32 v10, 0x34f2, v11
	;; [unrolled: 1-line block ×4, first 2 shown]
	ds_write_b16 v15, v14
	ds_write_b16 v15, v8 offset:12
	ds_write_b16 v15, v10 offset:24
	;; [unrolled: 1-line block ×4, first 2 shown]
.LBB0_33:
	s_or_b32 exec_lo, exec_lo, s1
	v_add_f16_e32 v8, v35, v32
	v_add_f16_e32 v10, v13, v33
	;; [unrolled: 1-line block ×3, first 2 shown]
	v_lshl_add_u32 v5, v5, 1, 0
	v_sub_f16_e32 v30, v40, v21
	v_fma_f16 v34, -0.5, v8, v13
	v_add_f16_e32 v8, v10, v35
	v_sub_f16_e32 v31, v38, v22
	v_sub_f16_e32 v36, v33, v35
	v_fmac_f16_e32 v13, -0.5, v11
	v_sub_f16_e32 v33, v35, v33
	v_add_f16_e32 v35, v8, v32
	s_waitcnt lgkmcnt(0)
	s_barrier
	buffer_gl0_inv
	ds_read_u16 v15, v5
	v_lshl_add_u32 v8, v3, 1, 0
	ds_read_u16 v14, v2 offset:1680
	ds_read_u16 v11, v2 offset:2100
	;; [unrolled: 1-line block ×3, first 2 shown]
	ds_read_u16 v10, v2
	ds_read_u16 v22, v6
	ds_read_u16 v21, v8 offset:1260
	v_sub_f16_e32 v37, v29, v32
	v_fmamk_f16 v38, v30, 0xbb9c, v34
	v_fmac_f16_e32 v34, 0x3b9c, v30
	v_fmamk_f16 v39, v31, 0x3b9c, v13
	v_sub_f16_e32 v32, v32, v29
	v_fmac_f16_e32 v13, 0xbb9c, v31
	v_fmac_f16_e32 v38, 0xb8b4, v31
	v_add_f16_e32 v36, v36, v37
	v_fmac_f16_e32 v34, 0x38b4, v31
	v_fmac_f16_e32 v39, 0xb8b4, v30
	v_add_f16_e32 v31, v33, v32
	v_fmac_f16_e32 v13, 0x38b4, v30
	v_add_f16_e32 v29, v35, v29
	v_fmac_f16_e32 v38, 0x34f2, v36
	v_fmac_f16_e32 v34, 0x34f2, v36
	;; [unrolled: 1-line block ×4, first 2 shown]
	s_waitcnt lgkmcnt(0)
	s_barrier
	buffer_gl0_inv
	ds_write_b16 v27, v29
	ds_write_b16 v27, v38 offset:12
	ds_write_b16 v27, v39 offset:24
	;; [unrolled: 1-line block ×4, first 2 shown]
	s_and_saveexec_b32 s1, s0
	s_cbranch_execz .LBB0_35
; %bb.34:
	v_add_f16_e32 v27, v19, v20
	v_add_f16_e32 v30, v18, v23
	;; [unrolled: 1-line block ×3, first 2 shown]
	v_sub_f16_e32 v25, v28, v25
	v_sub_f16_e32 v28, v18, v19
	;; [unrolled: 1-line block ×3, first 2 shown]
	v_fma_f16 v27, -0.5, v27, v7
	v_sub_f16_e32 v24, v24, v26
	v_fmac_f16_e32 v7, -0.5, v30
	v_add_f16_e32 v13, v13, v19
	v_add_f16_e32 v28, v28, v29
	v_mov_b32_e32 v29, 1
	v_fmamk_f16 v26, v25, 0xbb9c, v27
	v_fmamk_f16 v30, v24, 0x3b9c, v7
	v_sub_f16_e32 v18, v19, v18
	v_sub_f16_e32 v19, v20, v23
	v_fmac_f16_e32 v7, 0xbb9c, v24
	v_fmac_f16_e32 v27, 0x3b9c, v25
	v_add_f16_e32 v13, v13, v20
	v_lshlrev_b32_sdwa v9, v29, v9 dst_sel:DWORD dst_unused:UNUSED_PAD src0_sel:DWORD src1_sel:WORD_0
	v_lshlrev_b32_sdwa v17, v29, v17 dst_sel:DWORD dst_unused:UNUSED_PAD src0_sel:DWORD src1_sel:WORD_0
	v_fmac_f16_e32 v26, 0xb8b4, v24
	v_fmac_f16_e32 v30, 0xb8b4, v25
	v_add_f16_e32 v18, v18, v19
	v_fmac_f16_e32 v7, 0x38b4, v25
	v_fmac_f16_e32 v27, 0x38b4, v24
	v_add_f16_e32 v13, v13, v23
	v_add3_u32 v9, 0, v9, v17
	v_fmac_f16_e32 v26, 0x34f2, v28
	v_fmac_f16_e32 v30, 0x34f2, v18
	v_fmac_f16_e32 v7, 0x34f2, v18
	v_fmac_f16_e32 v27, 0x34f2, v28
	ds_write_b16 v9, v13
	ds_write_b16 v9, v26 offset:12
	ds_write_b16 v9, v30 offset:24
	;; [unrolled: 1-line block ×4, first 2 shown]
.LBB0_35:
	s_or_b32 exec_lo, exec_lo, s1
	v_mul_lo_u16 v7, 0x89, v12
	v_mov_b32_e32 v12, 6
	s_waitcnt lgkmcnt(0)
	s_barrier
	buffer_gl0_inv
	v_lshrrev_b16 v7, 12, v7
	v_mov_b32_e32 v26, 0x1a4
	v_mov_b32_e32 v27, 1
	v_mul_lo_u16 v9, v7, 30
	v_mul_u32_u24_sdwa v7, v7, v26 dst_sel:DWORD dst_unused:UNUSED_PAD src0_sel:WORD_0 src1_sel:DWORD
	v_sub_nc_u16 v9, v3, v9
	v_mul_u32_u24_sdwa v12, v9, v12 dst_sel:DWORD dst_unused:UNUSED_PAD src0_sel:BYTE_0 src1_sel:DWORD
	v_lshlrev_b32_sdwa v9, v27, v9 dst_sel:DWORD dst_unused:UNUSED_PAD src0_sel:DWORD src1_sel:BYTE_0
	v_lshlrev_b32_e32 v12, 2, v12
	v_add3_u32 v27, 0, v7, v9
	s_clause 0x1
	global_load_dwordx4 v[17:20], v12, s[8:9] offset:112
	global_load_dwordx2 v[12:13], v12, s[8:9] offset:128
	ds_read_u16 v23, v6
	ds_read_u16 v24, v5
	ds_read_u16 v25, v8 offset:1260
	ds_read_u16 v28, v2 offset:1680
	;; [unrolled: 1-line block ×4, first 2 shown]
	ds_read_u16 v26, v2
	s_waitcnt vmcnt(0) lgkmcnt(0)
	s_barrier
	buffer_gl0_inv
	v_mul_f16_sdwa v7, v23, v17 dst_sel:DWORD dst_unused:UNUSED_PAD src0_sel:DWORD src1_sel:WORD_1
	v_mul_f16_sdwa v31, v24, v18 dst_sel:DWORD dst_unused:UNUSED_PAD src0_sel:DWORD src1_sel:WORD_1
	;; [unrolled: 1-line block ×12, first 2 shown]
	v_fma_f16 v7, v22, v17, -v7
	v_fma_f16 v15, v15, v18, -v31
	;; [unrolled: 1-line block ×4, first 2 shown]
	v_fmac_f16_e32 v9, v23, v17
	v_fmac_f16_e32 v32, v24, v18
	v_fma_f16 v17, v21, v19, -v33
	v_fmac_f16_e32 v34, v25, v19
	v_fma_f16 v14, v14, v20, -v35
	v_fmac_f16_e32 v40, v30, v13
	v_fmac_f16_e32 v36, v28, v20
	;; [unrolled: 1-line block ×3, first 2 shown]
	v_add_f16_e32 v12, v7, v16
	v_sub_f16_e32 v7, v7, v16
	v_add_f16_e32 v16, v15, v11
	v_add_f16_e32 v13, v9, v40
	v_sub_f16_e32 v9, v9, v40
	v_add_f16_e32 v18, v32, v38
	v_sub_f16_e32 v11, v15, v11
	v_sub_f16_e32 v15, v32, v38
	v_add_f16_e32 v19, v17, v14
	v_add_f16_e32 v20, v34, v36
	v_sub_f16_e32 v14, v14, v17
	v_sub_f16_e32 v17, v36, v34
	v_add_f16_e32 v21, v16, v12
	v_add_f16_e32 v22, v18, v13
	v_sub_f16_e32 v23, v16, v12
	v_sub_f16_e32 v24, v18, v13
	;; [unrolled: 1-line block ×6, first 2 shown]
	v_add_f16_e32 v25, v14, v11
	v_add_f16_e32 v28, v17, v15
	v_sub_f16_e32 v29, v14, v11
	v_sub_f16_e32 v30, v17, v15
	v_sub_f16_e32 v11, v11, v7
	v_sub_f16_e32 v15, v15, v9
	v_add_f16_e32 v19, v19, v21
	v_sub_f16_e32 v14, v7, v14
	v_sub_f16_e32 v17, v9, v17
	v_add_f16_e32 v20, v20, v22
	v_add_f16_e32 v7, v25, v7
	;; [unrolled: 1-line block ×3, first 2 shown]
	v_mul_f16_e32 v12, 0x3a52, v12
	v_mul_f16_e32 v13, 0x3a52, v13
	v_mul_f16_e32 v21, 0x2b26, v16
	v_mul_f16_e32 v22, 0x2b26, v18
	v_mul_f16_e32 v25, 0xb846, v29
	v_mul_f16_e32 v28, 0xb846, v30
	v_mul_f16_e32 v29, 0x3b00, v11
	v_mul_f16_e32 v30, 0x3b00, v15
	v_add_f16_e32 v10, v10, v19
	v_fmamk_f16 v16, v16, 0x2b26, v12
	v_fmamk_f16 v18, v18, 0x2b26, v13
	v_fma_f16 v21, v23, 0x39e0, -v21
	v_fma_f16 v22, v24, 0x39e0, -v22
	;; [unrolled: 1-line block ×4, first 2 shown]
	v_fmamk_f16 v23, v14, 0x3574, v25
	v_fmamk_f16 v24, v17, 0x3574, v28
	v_fma_f16 v25, v11, 0x3b00, -v25
	v_fma_f16 v11, v15, 0x3b00, -v28
	;; [unrolled: 1-line block ×4, first 2 shown]
	v_fmamk_f16 v17, v19, 0xbcab, v10
	v_add_f16_e32 v26, v26, v20
	v_fmac_f16_e32 v23, 0x370e, v7
	v_fmac_f16_e32 v24, 0x370e, v9
	;; [unrolled: 1-line block ×4, first 2 shown]
	v_add_f16_e32 v7, v16, v17
	v_fmamk_f16 v19, v20, 0xbcab, v26
	v_fmac_f16_e32 v11, 0x370e, v9
	v_fmac_f16_e32 v14, 0x370e, v9
	v_add_f16_e32 v9, v12, v17
	ds_write_b16 v27, v10
	v_add_f16_e32 v10, v21, v17
	v_add_f16_e32 v12, v24, v7
	;; [unrolled: 1-line block ×6, first 2 shown]
	v_sub_f16_e32 v19, v10, v11
	v_add_f16_e32 v10, v11, v10
	v_sub_f16_e32 v9, v9, v14
	v_sub_f16_e32 v7, v7, v24
	ds_write_b16 v27, v12 offset:60
	ds_write_b16 v27, v13 offset:120
	;; [unrolled: 1-line block ×6, first 2 shown]
	s_waitcnt lgkmcnt(0)
	s_barrier
	buffer_gl0_inv
	ds_read_u16 v9, v5
	ds_read_u16 v11, v2 offset:1680
	ds_read_u16 v10, v2 offset:2100
	;; [unrolled: 1-line block ×3, first 2 shown]
	ds_read_u16 v7, v2
	ds_read_u16 v14, v6
	ds_read_u16 v13, v8 offset:1260
	v_sub_f16_e32 v19, v16, v23
	v_sub_f16_e32 v20, v18, v15
	v_add_f16_e32 v21, v25, v17
	v_sub_f16_e32 v17, v17, v25
	v_add_f16_e32 v15, v15, v18
	v_add_f16_e32 v16, v23, v16
	s_waitcnt lgkmcnt(0)
	s_barrier
	buffer_gl0_inv
	ds_write_b16 v27, v26
	ds_write_b16 v27, v19 offset:60
	ds_write_b16 v27, v20 offset:120
	;; [unrolled: 1-line block ×6, first 2 shown]
	s_waitcnt lgkmcnt(0)
	s_barrier
	buffer_gl0_inv
	s_and_saveexec_b32 s0, vcc_lo
	s_cbranch_execz .LBB0_37
; %bb.36:
	v_mul_u32_u24_e32 v3, 6, v3
	v_add_nc_u32_e32 v31, 0xd2, v4
	v_add_nc_u32_e32 v32, 0x1a4, v4
	;; [unrolled: 1-line block ×4, first 2 shown]
	v_lshlrev_b32_e32 v3, 2, v3
	v_add_nc_u32_e32 v33, 0x276, v4
	v_add_nc_u32_e32 v35, 0x41a, v4
	v_mad_u64_u32 v[21:22], null, s12, v32, 0
	s_clause 0x1
	global_load_dwordx4 v[15:18], v3, s[8:9] offset:832
	global_load_dwordx2 v[19:20], v3, s[8:9] offset:848
	ds_read_u16 v37, v6
	ds_read_u16 v38, v8 offset:1260
	ds_read_u16 v39, v5
	ds_read_u16 v40, v2 offset:2520
	ds_read_u16 v41, v2 offset:2100
	;; [unrolled: 1-line block ×3, first 2 shown]
	ds_read_u16 v43, v2
	v_mad_u64_u32 v[2:3], null, s12, v4, 0
	v_mad_u64_u32 v[5:6], null, s12, v31, 0
	;; [unrolled: 1-line block ×7, first 2 shown]
	v_mov_b32_e32 v4, v6
	v_mov_b32_e32 v6, v22
	;; [unrolled: 1-line block ×5, first 2 shown]
	v_mad_u64_u32 v[30:31], null, s13, v31, v[4:5]
	v_mov_b32_e32 v24, v28
	v_mad_u64_u32 v[31:32], null, s13, v32, v[6:7]
	v_mad_u64_u32 v[32:33], null, s13, v33, v[8:9]
	;; [unrolled: 1-line block ×4, first 2 shown]
	v_add_co_u32 v8, vcc_lo, s2, v0
	v_mov_b32_e32 v6, v30
	v_mad_u64_u32 v[35:36], null, s13, v36, v[26:27]
	v_add_co_ci_u32_e32 v36, vcc_lo, s3, v1, vcc_lo
	v_lshlrev_b64 v[0:1], 2, v[2:3]
	v_mov_b32_e32 v22, v31
	v_lshlrev_b64 v[2:3], 2, v[5:6]
	v_mov_b32_e32 v24, v32
	v_mov_b32_e32 v26, v33
	;; [unrolled: 1-line block ×3, first 2 shown]
	v_lshlrev_b64 v[4:5], 2, v[21:22]
	v_add_co_u32 v0, vcc_lo, v8, v0
	v_add_co_ci_u32_e32 v1, vcc_lo, v36, v1, vcc_lo
	v_lshlrev_b64 v[21:22], 2, v[23:24]
	v_add_co_u32 v2, vcc_lo, v8, v2
	v_add_co_ci_u32_e32 v3, vcc_lo, v36, v3, vcc_lo
	v_lshlrev_b64 v[23:24], 2, v[25:26]
	v_add_co_u32 v4, vcc_lo, v8, v4
	v_mov_b32_e32 v30, v35
	v_add_co_ci_u32_e32 v5, vcc_lo, v36, v5, vcc_lo
	v_lshlrev_b64 v[25:26], 2, v[27:28]
	v_add_co_u32 v21, vcc_lo, v8, v21
	v_add_co_ci_u32_e32 v22, vcc_lo, v36, v22, vcc_lo
	v_lshlrev_b64 v[27:28], 2, v[29:30]
	v_add_co_u32 v23, vcc_lo, v8, v23
	v_add_co_ci_u32_e32 v24, vcc_lo, v36, v24, vcc_lo
	v_add_co_u32 v25, vcc_lo, v8, v25
	v_add_co_ci_u32_e32 v26, vcc_lo, v36, v26, vcc_lo
	;; [unrolled: 2-line block ×3, first 2 shown]
	s_waitcnt vmcnt(1) lgkmcnt(6)
	v_mul_f16_sdwa v6, v37, v15 dst_sel:DWORD dst_unused:UNUSED_PAD src0_sel:DWORD src1_sel:WORD_1
	s_waitcnt vmcnt(0) lgkmcnt(3)
	v_mul_f16_sdwa v8, v40, v20 dst_sel:DWORD dst_unused:UNUSED_PAD src0_sel:DWORD src1_sel:WORD_1
	v_mul_f16_sdwa v31, v39, v16 dst_sel:DWORD dst_unused:UNUSED_PAD src0_sel:DWORD src1_sel:WORD_1
	s_waitcnt lgkmcnt(2)
	v_mul_f16_sdwa v32, v41, v19 dst_sel:DWORD dst_unused:UNUSED_PAD src0_sel:DWORD src1_sel:WORD_1
	v_mul_f16_sdwa v33, v12, v20 dst_sel:DWORD dst_unused:UNUSED_PAD src0_sel:DWORD src1_sel:WORD_1
	;; [unrolled: 1-line block ×5, first 2 shown]
	s_waitcnt lgkmcnt(1)
	v_mul_f16_sdwa v29, v42, v18 dst_sel:DWORD dst_unused:UNUSED_PAD src0_sel:DWORD src1_sel:WORD_1
	v_mul_f16_sdwa v30, v38, v17 dst_sel:DWORD dst_unused:UNUSED_PAD src0_sel:DWORD src1_sel:WORD_1
	;; [unrolled: 1-line block ×4, first 2 shown]
	v_fma_f16 v6, v14, v15, -v6
	v_fma_f16 v8, v12, v20, -v8
	;; [unrolled: 1-line block ×4, first 2 shown]
	v_fmac_f16_e32 v33, v20, v40
	v_fmac_f16_e32 v34, v15, v37
	;; [unrolled: 1-line block ×4, first 2 shown]
	v_fma_f16 v11, v11, v18, -v29
	v_fma_f16 v12, v13, v17, -v30
	v_fmac_f16_e32 v35, v17, v38
	v_fmac_f16_e32 v36, v18, v42
	v_sub_f16_e32 v13, v6, v8
	v_sub_f16_e32 v15, v9, v10
	v_add_f16_e32 v16, v34, v33
	v_add_f16_e32 v18, v45, v44
	;; [unrolled: 1-line block ×4, first 2 shown]
	v_sub_f16_e32 v14, v11, v12
	v_add_f16_e32 v17, v36, v35
	v_add_f16_e32 v8, v11, v12
	v_sub_f16_e32 v10, v34, v33
	v_sub_f16_e32 v11, v36, v35
	;; [unrolled: 1-line block ×3, first 2 shown]
	v_add_f16_e32 v31, v16, v18
	v_add_f16_e32 v34, v6, v9
	v_sub_f16_e32 v19, v13, v14
	v_sub_f16_e32 v20, v14, v15
	v_add_f16_e32 v14, v14, v15
	v_sub_f16_e32 v29, v16, v17
	v_sub_f16_e32 v30, v17, v18
	;; [unrolled: 1-line block ×6, first 2 shown]
	v_add_f16_e32 v11, v11, v12
	v_sub_f16_e32 v15, v15, v13
	v_sub_f16_e32 v6, v9, v6
	;; [unrolled: 1-line block ×3, first 2 shown]
	v_add_f16_e32 v17, v17, v31
	v_add_f16_e32 v8, v8, v34
	v_sub_f16_e32 v16, v18, v16
	v_mul_f16_e32 v12, 0xb846, v20
	v_mul_f16_e32 v18, 0x2b26, v30
	;; [unrolled: 1-line block ×5, first 2 shown]
	v_add_f16_e32 v10, v10, v11
	v_mul_f16_e32 v11, 0x3b00, v15
	v_mul_f16_e32 v33, 0x3b00, v9
	s_waitcnt lgkmcnt(0)
	v_add_f16_e32 v36, v43, v17
	v_add_f16_e32 v7, v7, v8
	v_add_f16_e32 v13, v13, v14
	v_mul_f16_e32 v14, 0x3a52, v29
	v_fmamk_f16 v34, v19, 0x3574, v12
	v_fmamk_f16 v29, v29, 0x3a52, v18
	;; [unrolled: 1-line block ×4, first 2 shown]
	v_fma_f16 v11, v19, 0xb574, -v11
	v_fma_f16 v19, v6, 0xb9e0, -v20
	;; [unrolled: 1-line block ×5, first 2 shown]
	v_fmamk_f16 v15, v17, 0xbcab, v36
	v_fmamk_f16 v8, v8, 0xbcab, v7
	v_fma_f16 v14, v16, 0xb9e0, -v14
	v_fma_f16 v16, v16, 0x39e0, -v18
	;; [unrolled: 1-line block ×3, first 2 shown]
	v_fmac_f16_e32 v34, 0x370e, v13
	v_fmac_f16_e32 v37, 0x370e, v10
	;; [unrolled: 1-line block ×6, first 2 shown]
	v_pack_b32_f16 v7, v7, v36
	v_add_f16_e32 v10, v29, v15
	v_add_f16_e32 v13, v32, v8
	;; [unrolled: 1-line block ×6, first 2 shown]
	global_store_dword v[0:1], v7, off
	v_add_f16_e32 v0, v34, v10
	v_sub_f16_e32 v1, v13, v37
	v_sub_f16_e32 v10, v10, v34
	v_add_f16_e32 v13, v37, v13
	v_add_f16_e32 v7, v11, v14
	v_sub_f16_e32 v11, v14, v11
	v_add_f16_e32 v14, v20, v17
	v_sub_f16_e32 v8, v15, v12
	;; [unrolled: 2-line block ×4, first 2 shown]
	v_pack_b32_f16 v10, v13, v10
	v_pack_b32_f16 v11, v14, v11
	;; [unrolled: 1-line block ×6, first 2 shown]
	global_store_dword v[2:3], v10, off
	global_store_dword v[4:5], v11, off
	;; [unrolled: 1-line block ×6, first 2 shown]
.LBB0_37:
	s_endpgm
	.section	.rodata,"a",@progbits
	.p2align	6, 0x0
	.amdhsa_kernel fft_rtc_fwd_len1470_factors_2_3_5_7_7_wgs_210_tpt_210_halfLds_half_ip_CI_sbrr_dirReg
		.amdhsa_group_segment_fixed_size 0
		.amdhsa_private_segment_fixed_size 0
		.amdhsa_kernarg_size 88
		.amdhsa_user_sgpr_count 6
		.amdhsa_user_sgpr_private_segment_buffer 1
		.amdhsa_user_sgpr_dispatch_ptr 0
		.amdhsa_user_sgpr_queue_ptr 0
		.amdhsa_user_sgpr_kernarg_segment_ptr 1
		.amdhsa_user_sgpr_dispatch_id 0
		.amdhsa_user_sgpr_flat_scratch_init 0
		.amdhsa_user_sgpr_private_segment_size 0
		.amdhsa_wavefront_size32 1
		.amdhsa_uses_dynamic_stack 0
		.amdhsa_system_sgpr_private_segment_wavefront_offset 0
		.amdhsa_system_sgpr_workgroup_id_x 1
		.amdhsa_system_sgpr_workgroup_id_y 0
		.amdhsa_system_sgpr_workgroup_id_z 0
		.amdhsa_system_sgpr_workgroup_info 0
		.amdhsa_system_vgpr_workitem_id 0
		.amdhsa_next_free_vgpr 56
		.amdhsa_next_free_sgpr 23
		.amdhsa_reserve_vcc 1
		.amdhsa_reserve_flat_scratch 0
		.amdhsa_float_round_mode_32 0
		.amdhsa_float_round_mode_16_64 0
		.amdhsa_float_denorm_mode_32 3
		.amdhsa_float_denorm_mode_16_64 3
		.amdhsa_dx10_clamp 1
		.amdhsa_ieee_mode 1
		.amdhsa_fp16_overflow 0
		.amdhsa_workgroup_processor_mode 1
		.amdhsa_memory_ordered 1
		.amdhsa_forward_progress 0
		.amdhsa_shared_vgpr_count 0
		.amdhsa_exception_fp_ieee_invalid_op 0
		.amdhsa_exception_fp_denorm_src 0
		.amdhsa_exception_fp_ieee_div_zero 0
		.amdhsa_exception_fp_ieee_overflow 0
		.amdhsa_exception_fp_ieee_underflow 0
		.amdhsa_exception_fp_ieee_inexact 0
		.amdhsa_exception_int_div_zero 0
	.end_amdhsa_kernel
	.text
.Lfunc_end0:
	.size	fft_rtc_fwd_len1470_factors_2_3_5_7_7_wgs_210_tpt_210_halfLds_half_ip_CI_sbrr_dirReg, .Lfunc_end0-fft_rtc_fwd_len1470_factors_2_3_5_7_7_wgs_210_tpt_210_halfLds_half_ip_CI_sbrr_dirReg
                                        ; -- End function
	.section	.AMDGPU.csdata,"",@progbits
; Kernel info:
; codeLenInByte = 6984
; NumSgprs: 25
; NumVgprs: 56
; ScratchSize: 0
; MemoryBound: 0
; FloatMode: 240
; IeeeMode: 1
; LDSByteSize: 0 bytes/workgroup (compile time only)
; SGPRBlocks: 3
; VGPRBlocks: 6
; NumSGPRsForWavesPerEU: 25
; NumVGPRsForWavesPerEU: 56
; Occupancy: 16
; WaveLimiterHint : 1
; COMPUTE_PGM_RSRC2:SCRATCH_EN: 0
; COMPUTE_PGM_RSRC2:USER_SGPR: 6
; COMPUTE_PGM_RSRC2:TRAP_HANDLER: 0
; COMPUTE_PGM_RSRC2:TGID_X_EN: 1
; COMPUTE_PGM_RSRC2:TGID_Y_EN: 0
; COMPUTE_PGM_RSRC2:TGID_Z_EN: 0
; COMPUTE_PGM_RSRC2:TIDIG_COMP_CNT: 0
	.text
	.p2alignl 6, 3214868480
	.fill 48, 4, 3214868480
	.type	__hip_cuid_73e6867cc89f501e,@object ; @__hip_cuid_73e6867cc89f501e
	.section	.bss,"aw",@nobits
	.globl	__hip_cuid_73e6867cc89f501e
__hip_cuid_73e6867cc89f501e:
	.byte	0                               ; 0x0
	.size	__hip_cuid_73e6867cc89f501e, 1

	.ident	"AMD clang version 19.0.0git (https://github.com/RadeonOpenCompute/llvm-project roc-6.4.0 25133 c7fe45cf4b819c5991fe208aaa96edf142730f1d)"
	.section	".note.GNU-stack","",@progbits
	.addrsig
	.addrsig_sym __hip_cuid_73e6867cc89f501e
	.amdgpu_metadata
---
amdhsa.kernels:
  - .args:
      - .actual_access:  read_only
        .address_space:  global
        .offset:         0
        .size:           8
        .value_kind:     global_buffer
      - .offset:         8
        .size:           8
        .value_kind:     by_value
      - .actual_access:  read_only
        .address_space:  global
        .offset:         16
        .size:           8
        .value_kind:     global_buffer
      - .actual_access:  read_only
        .address_space:  global
        .offset:         24
        .size:           8
        .value_kind:     global_buffer
      - .offset:         32
        .size:           8
        .value_kind:     by_value
      - .actual_access:  read_only
        .address_space:  global
        .offset:         40
        .size:           8
        .value_kind:     global_buffer
      - .actual_access:  read_only
        .address_space:  global
        .offset:         48
        .size:           8
        .value_kind:     global_buffer
      - .offset:         56
        .size:           4
        .value_kind:     by_value
      - .actual_access:  read_only
        .address_space:  global
        .offset:         64
        .size:           8
        .value_kind:     global_buffer
      - .actual_access:  read_only
        .address_space:  global
        .offset:         72
        .size:           8
        .value_kind:     global_buffer
      - .address_space:  global
        .offset:         80
        .size:           8
        .value_kind:     global_buffer
    .group_segment_fixed_size: 0
    .kernarg_segment_align: 8
    .kernarg_segment_size: 88
    .language:       OpenCL C
    .language_version:
      - 2
      - 0
    .max_flat_workgroup_size: 210
    .name:           fft_rtc_fwd_len1470_factors_2_3_5_7_7_wgs_210_tpt_210_halfLds_half_ip_CI_sbrr_dirReg
    .private_segment_fixed_size: 0
    .sgpr_count:     25
    .sgpr_spill_count: 0
    .symbol:         fft_rtc_fwd_len1470_factors_2_3_5_7_7_wgs_210_tpt_210_halfLds_half_ip_CI_sbrr_dirReg.kd
    .uniform_work_group_size: 1
    .uses_dynamic_stack: false
    .vgpr_count:     56
    .vgpr_spill_count: 0
    .wavefront_size: 32
    .workgroup_processor_mode: 1
amdhsa.target:   amdgcn-amd-amdhsa--gfx1030
amdhsa.version:
  - 1
  - 2
...

	.end_amdgpu_metadata
